;; amdgpu-corpus repo=ROCm/rocFFT kind=compiled arch=gfx906 opt=O3
	.text
	.amdgcn_target "amdgcn-amd-amdhsa--gfx906"
	.amdhsa_code_object_version 6
	.protected	fft_rtc_back_len784_factors_2_2_2_2_7_7_wgs_56_tpt_56_halfLds_sp_op_CI_CI_unitstride_sbrr_dirReg ; -- Begin function fft_rtc_back_len784_factors_2_2_2_2_7_7_wgs_56_tpt_56_halfLds_sp_op_CI_CI_unitstride_sbrr_dirReg
	.globl	fft_rtc_back_len784_factors_2_2_2_2_7_7_wgs_56_tpt_56_halfLds_sp_op_CI_CI_unitstride_sbrr_dirReg
	.p2align	8
	.type	fft_rtc_back_len784_factors_2_2_2_2_7_7_wgs_56_tpt_56_halfLds_sp_op_CI_CI_unitstride_sbrr_dirReg,@function
fft_rtc_back_len784_factors_2_2_2_2_7_7_wgs_56_tpt_56_halfLds_sp_op_CI_CI_unitstride_sbrr_dirReg: ; @fft_rtc_back_len784_factors_2_2_2_2_7_7_wgs_56_tpt_56_halfLds_sp_op_CI_CI_unitstride_sbrr_dirReg
; %bb.0:
	s_load_dwordx4 s[8:11], s[4:5], 0x58
	s_load_dwordx4 s[12:15], s[4:5], 0x0
	;; [unrolled: 1-line block ×3, first 2 shown]
	v_mul_u32_u24_e32 v1, 0x493, v0
	v_mov_b32_e32 v7, 0
	v_mov_b32_e32 v5, 0
	s_waitcnt lgkmcnt(0)
	v_cmp_lt_u64_e64 s[0:1], s[14:15], 2
	v_add_u32_sdwa v9, s6, v1 dst_sel:DWORD dst_unused:UNUSED_PAD src0_sel:DWORD src1_sel:WORD_1
	v_mov_b32_e32 v10, v7
	s_and_b64 vcc, exec, s[0:1]
	v_mov_b32_e32 v6, 0
	s_cbranch_vccnz .LBB0_8
; %bb.1:
	s_load_dwordx2 s[0:1], s[4:5], 0x10
	s_add_u32 s2, s18, 8
	s_addc_u32 s3, s19, 0
	s_add_u32 s6, s16, 8
	s_addc_u32 s7, s17, 0
	v_mov_b32_e32 v5, 0
	s_waitcnt lgkmcnt(0)
	s_add_u32 s20, s0, 8
	v_mov_b32_e32 v6, 0
	v_mov_b32_e32 v1, v5
	s_addc_u32 s21, s1, 0
	s_mov_b64 s[22:23], 1
	v_mov_b32_e32 v2, v6
.LBB0_2:                                ; =>This Inner Loop Header: Depth=1
	s_load_dwordx2 s[24:25], s[20:21], 0x0
                                        ; implicit-def: $vgpr3_vgpr4
	s_waitcnt lgkmcnt(0)
	v_or_b32_e32 v8, s25, v10
	v_cmp_ne_u64_e32 vcc, 0, v[7:8]
	s_and_saveexec_b64 s[0:1], vcc
	s_xor_b64 s[26:27], exec, s[0:1]
	s_cbranch_execz .LBB0_4
; %bb.3:                                ;   in Loop: Header=BB0_2 Depth=1
	v_cvt_f32_u32_e32 v3, s24
	v_cvt_f32_u32_e32 v4, s25
	s_sub_u32 s0, 0, s24
	s_subb_u32 s1, 0, s25
	v_mac_f32_e32 v3, 0x4f800000, v4
	v_rcp_f32_e32 v3, v3
	v_mul_f32_e32 v3, 0x5f7ffffc, v3
	v_mul_f32_e32 v4, 0x2f800000, v3
	v_trunc_f32_e32 v4, v4
	v_mac_f32_e32 v3, 0xcf800000, v4
	v_cvt_u32_f32_e32 v4, v4
	v_cvt_u32_f32_e32 v3, v3
	v_mul_lo_u32 v8, s0, v4
	v_mul_hi_u32 v11, s0, v3
	v_mul_lo_u32 v13, s1, v3
	v_mul_lo_u32 v12, s0, v3
	v_add_u32_e32 v8, v11, v8
	v_add_u32_e32 v8, v8, v13
	v_mul_hi_u32 v11, v3, v12
	v_mul_lo_u32 v13, v3, v8
	v_mul_hi_u32 v15, v3, v8
	v_mul_hi_u32 v14, v4, v12
	v_mul_lo_u32 v12, v4, v12
	v_mul_hi_u32 v16, v4, v8
	v_add_co_u32_e32 v11, vcc, v11, v13
	v_addc_co_u32_e32 v13, vcc, 0, v15, vcc
	v_mul_lo_u32 v8, v4, v8
	v_add_co_u32_e32 v11, vcc, v11, v12
	v_addc_co_u32_e32 v11, vcc, v13, v14, vcc
	v_addc_co_u32_e32 v12, vcc, 0, v16, vcc
	v_add_co_u32_e32 v8, vcc, v11, v8
	v_addc_co_u32_e32 v11, vcc, 0, v12, vcc
	v_add_co_u32_e32 v3, vcc, v3, v8
	v_addc_co_u32_e32 v4, vcc, v4, v11, vcc
	v_mul_lo_u32 v8, s0, v4
	v_mul_hi_u32 v11, s0, v3
	v_mul_lo_u32 v12, s1, v3
	v_mul_lo_u32 v13, s0, v3
	v_add_u32_e32 v8, v11, v8
	v_add_u32_e32 v8, v8, v12
	v_mul_lo_u32 v14, v3, v8
	v_mul_hi_u32 v15, v3, v13
	v_mul_hi_u32 v16, v3, v8
	v_mul_hi_u32 v12, v4, v13
	v_mul_lo_u32 v13, v4, v13
	v_mul_hi_u32 v11, v4, v8
	v_add_co_u32_e32 v14, vcc, v15, v14
	v_addc_co_u32_e32 v15, vcc, 0, v16, vcc
	v_mul_lo_u32 v8, v4, v8
	v_add_co_u32_e32 v13, vcc, v14, v13
	v_addc_co_u32_e32 v12, vcc, v15, v12, vcc
	v_addc_co_u32_e32 v11, vcc, 0, v11, vcc
	v_add_co_u32_e32 v8, vcc, v12, v8
	v_addc_co_u32_e32 v11, vcc, 0, v11, vcc
	v_add_co_u32_e32 v8, vcc, v3, v8
	v_addc_co_u32_e32 v11, vcc, v4, v11, vcc
	v_mad_u64_u32 v[3:4], s[0:1], v9, v11, 0
	v_mul_hi_u32 v12, v9, v8
	v_add_co_u32_e32 v13, vcc, v12, v3
	v_addc_co_u32_e32 v14, vcc, 0, v4, vcc
	v_mad_u64_u32 v[3:4], s[0:1], v10, v8, 0
	v_mad_u64_u32 v[11:12], s[0:1], v10, v11, 0
	v_add_co_u32_e32 v3, vcc, v13, v3
	v_addc_co_u32_e32 v3, vcc, v14, v4, vcc
	v_addc_co_u32_e32 v4, vcc, 0, v12, vcc
	v_add_co_u32_e32 v8, vcc, v3, v11
	v_addc_co_u32_e32 v11, vcc, 0, v4, vcc
	v_mul_lo_u32 v12, s25, v8
	v_mul_lo_u32 v13, s24, v11
	v_mad_u64_u32 v[3:4], s[0:1], s24, v8, 0
	v_add3_u32 v4, v4, v13, v12
	v_sub_u32_e32 v12, v10, v4
	v_mov_b32_e32 v13, s25
	v_sub_co_u32_e32 v3, vcc, v9, v3
	v_subb_co_u32_e64 v12, s[0:1], v12, v13, vcc
	v_subrev_co_u32_e64 v13, s[0:1], s24, v3
	v_subbrev_co_u32_e64 v12, s[0:1], 0, v12, s[0:1]
	v_cmp_le_u32_e64 s[0:1], s25, v12
	v_cndmask_b32_e64 v14, 0, -1, s[0:1]
	v_cmp_le_u32_e64 s[0:1], s24, v13
	v_cndmask_b32_e64 v13, 0, -1, s[0:1]
	v_cmp_eq_u32_e64 s[0:1], s25, v12
	v_cndmask_b32_e64 v12, v14, v13, s[0:1]
	v_add_co_u32_e64 v13, s[0:1], 2, v8
	v_addc_co_u32_e64 v14, s[0:1], 0, v11, s[0:1]
	v_add_co_u32_e64 v15, s[0:1], 1, v8
	v_addc_co_u32_e64 v16, s[0:1], 0, v11, s[0:1]
	v_subb_co_u32_e32 v4, vcc, v10, v4, vcc
	v_cmp_ne_u32_e64 s[0:1], 0, v12
	v_cmp_le_u32_e32 vcc, s25, v4
	v_cndmask_b32_e64 v12, v16, v14, s[0:1]
	v_cndmask_b32_e64 v14, 0, -1, vcc
	v_cmp_le_u32_e32 vcc, s24, v3
	v_cndmask_b32_e64 v3, 0, -1, vcc
	v_cmp_eq_u32_e32 vcc, s25, v4
	v_cndmask_b32_e32 v3, v14, v3, vcc
	v_cmp_ne_u32_e32 vcc, 0, v3
	v_cndmask_b32_e64 v3, v15, v13, s[0:1]
	v_cndmask_b32_e32 v4, v11, v12, vcc
	v_cndmask_b32_e32 v3, v8, v3, vcc
.LBB0_4:                                ;   in Loop: Header=BB0_2 Depth=1
	s_andn2_saveexec_b64 s[0:1], s[26:27]
	s_cbranch_execz .LBB0_6
; %bb.5:                                ;   in Loop: Header=BB0_2 Depth=1
	v_cvt_f32_u32_e32 v3, s24
	s_sub_i32 s26, 0, s24
	v_rcp_iflag_f32_e32 v3, v3
	v_mul_f32_e32 v3, 0x4f7ffffe, v3
	v_cvt_u32_f32_e32 v3, v3
	v_mul_lo_u32 v4, s26, v3
	v_mul_hi_u32 v4, v3, v4
	v_add_u32_e32 v3, v3, v4
	v_mul_hi_u32 v3, v9, v3
	v_mul_lo_u32 v4, v3, s24
	v_add_u32_e32 v8, 1, v3
	v_sub_u32_e32 v4, v9, v4
	v_subrev_u32_e32 v11, s24, v4
	v_cmp_le_u32_e32 vcc, s24, v4
	v_cndmask_b32_e32 v4, v4, v11, vcc
	v_cndmask_b32_e32 v3, v3, v8, vcc
	v_add_u32_e32 v8, 1, v3
	v_cmp_le_u32_e32 vcc, s24, v4
	v_cndmask_b32_e32 v3, v3, v8, vcc
	v_mov_b32_e32 v4, v7
.LBB0_6:                                ;   in Loop: Header=BB0_2 Depth=1
	s_or_b64 exec, exec, s[0:1]
	v_mul_lo_u32 v8, v4, s24
	v_mul_lo_u32 v13, v3, s25
	v_mad_u64_u32 v[11:12], s[0:1], v3, s24, 0
	s_load_dwordx2 s[0:1], s[6:7], 0x0
	s_load_dwordx2 s[24:25], s[2:3], 0x0
	v_add3_u32 v8, v12, v13, v8
	v_sub_co_u32_e32 v9, vcc, v9, v11
	v_subb_co_u32_e32 v8, vcc, v10, v8, vcc
	s_waitcnt lgkmcnt(0)
	v_mul_lo_u32 v10, s0, v8
	v_mul_lo_u32 v11, s1, v9
	v_mad_u64_u32 v[5:6], s[0:1], s0, v9, v[5:6]
	v_mul_lo_u32 v8, s24, v8
	v_mul_lo_u32 v12, s25, v9
	v_mad_u64_u32 v[1:2], s[0:1], s24, v9, v[1:2]
	s_add_u32 s22, s22, 1
	s_addc_u32 s23, s23, 0
	s_add_u32 s2, s2, 8
	v_add3_u32 v2, v12, v2, v8
	s_addc_u32 s3, s3, 0
	v_mov_b32_e32 v8, s14
	s_add_u32 s6, s6, 8
	v_mov_b32_e32 v9, s15
	s_addc_u32 s7, s7, 0
	v_cmp_ge_u64_e32 vcc, s[22:23], v[8:9]
	s_add_u32 s20, s20, 8
	v_add3_u32 v6, v11, v6, v10
	s_addc_u32 s21, s21, 0
	s_cbranch_vccnz .LBB0_9
; %bb.7:                                ;   in Loop: Header=BB0_2 Depth=1
	v_mov_b32_e32 v10, v4
	v_mov_b32_e32 v9, v3
	s_branch .LBB0_2
.LBB0_8:
	v_mov_b32_e32 v1, v5
	v_mov_b32_e32 v3, v9
	;; [unrolled: 1-line block ×4, first 2 shown]
.LBB0_9:
	s_load_dwordx2 s[0:1], s[4:5], 0x28
	s_lshl_b64 s[6:7], s[14:15], 3
	s_add_u32 s2, s18, s6
	s_addc_u32 s3, s19, s7
                                        ; implicit-def: $sgpr14_sgpr15
                                        ; implicit-def: $vgpr35
	s_waitcnt lgkmcnt(0)
	v_cmp_gt_u64_e32 vcc, s[0:1], v[3:4]
	v_cmp_le_u64_e64 s[0:1], s[0:1], v[3:4]
	s_and_saveexec_b64 s[4:5], s[0:1]
	s_xor_b64 s[0:1], exec, s[4:5]
; %bb.10:
	s_mov_b32 s4, 0x4924925
	v_mul_hi_u32 v5, v0, s4
	s_mov_b64 s[14:15], 0
	v_mul_u32_u24_e32 v5, 56, v5
	v_sub_u32_e32 v35, v0, v5
                                        ; implicit-def: $vgpr0
                                        ; implicit-def: $vgpr5_vgpr6
; %bb.11:
	s_or_saveexec_b64 s[4:5], s[0:1]
	v_mov_b32_e32 v32, s15
	v_mov_b32_e32 v7, s14
	;; [unrolled: 1-line block ×14, first 2 shown]
                                        ; implicit-def: $vgpr34
                                        ; implicit-def: $vgpr20
                                        ; implicit-def: $vgpr16
                                        ; implicit-def: $vgpr12
                                        ; implicit-def: $vgpr14
                                        ; implicit-def: $vgpr28
                                        ; implicit-def: $vgpr30
	s_xor_b64 exec, exec, s[4:5]
	s_cbranch_execz .LBB0_13
; %bb.12:
	s_add_u32 s0, s16, s6
	s_addc_u32 s1, s17, s7
	s_load_dwordx2 s[0:1], s[0:1], 0x0
	s_mov_b32 s6, 0x4924925
	v_mul_hi_u32 v9, v0, s6
	v_lshlrev_b64 v[5:6], 3, v[5:6]
	s_waitcnt lgkmcnt(0)
	v_mul_lo_u32 v10, s1, v3
	v_mul_lo_u32 v11, s0, v4
	v_mad_u64_u32 v[7:8], s[0:1], s0, v3, 0
	v_mul_u32_u24_e32 v9, 56, v9
	v_sub_u32_e32 v35, v0, v9
	v_add3_u32 v8, v8, v11, v10
	v_lshlrev_b64 v[7:8], 3, v[7:8]
	v_mov_b32_e32 v0, s9
	v_add_co_u32_e64 v7, s[0:1], s8, v7
	v_addc_co_u32_e64 v0, s[0:1], v0, v8, s[0:1]
	v_add_co_u32_e64 v5, s[0:1], v7, v5
	v_addc_co_u32_e64 v0, s[0:1], v0, v6, s[0:1]
	v_lshlrev_b32_e32 v6, 3, v35
	v_add_co_u32_e64 v5, s[0:1], v5, v6
	v_addc_co_u32_e64 v6, s[0:1], 0, v0, s[0:1]
	s_movk_i32 s0, 0x1000
	v_add_co_u32_e64 v36, s[0:1], s0, v5
	global_load_dwordx2 v[31:32], v[5:6], off
	global_load_dwordx2 v[7:8], v[5:6], off offset:448
	global_load_dwordx2 v[9:10], v[5:6], off offset:896
	;; [unrolled: 1-line block ×3, first 2 shown]
	v_addc_co_u32_e64 v37, s[0:1], 0, v6, s[0:1]
	global_load_dwordx2 v[21:22], v[5:6], off offset:1792
	global_load_dwordx2 v[23:24], v[5:6], off offset:2240
	;; [unrolled: 1-line block ×10, first 2 shown]
.LBB0_13:
	s_or_b64 exec, exec, s[4:5]
	s_waitcnt vmcnt(7)
	v_sub_f32_e32 v6, v31, v33
	s_waitcnt vmcnt(5)
	v_sub_f32_e32 v37, v7, v29
	v_fma_f32 v5, v31, 2.0, -v6
	v_fma_f32 v36, v7, 2.0, -v37
	v_lshl_add_u32 v7, v35, 3, 0
	ds_write_b64 v7, v[5:6]
	s_waitcnt vmcnt(4)
	v_sub_f32_e32 v6, v9, v27
	v_add_u32_e32 v27, 0x70, v35
	v_sub_f32_e32 v33, v32, v34
	v_fma_f32 v5, v9, 2.0, -v6
	v_lshl_add_u32 v34, v27, 3, 0
	ds_write_b64 v34, v[5:6]
	s_waitcnt vmcnt(3)
	v_sub_f32_e32 v6, v17, v19
	v_fma_f32 v5, v17, 2.0, -v6
	v_add_u32_e32 v17, 0xa8, v35
	v_lshl_add_u32 v48, v17, 3, 0
	ds_write_b64 v48, v[5:6]
	s_waitcnt vmcnt(2)
	v_sub_f32_e32 v6, v21, v15
	v_add_u32_e32 v15, 0xe0, v35
	v_fma_f32 v5, v21, 2.0, -v6
	v_lshl_add_u32 v49, v15, 3, 0
	ds_write_b64 v49, v[5:6]
	s_waitcnt vmcnt(1)
	v_sub_f32_e32 v6, v23, v11
	v_add_u32_e32 v50, 0x118, v35
	v_fma_f32 v5, v23, 2.0, -v6
	;; [unrolled: 6-line block ×3, first 2 shown]
	v_add_u32_e32 v25, 0x150, v35
	v_lshlrev_b32_e32 v0, 2, v35
	v_sub_f32_e32 v9, v8, v30
	v_lshl_add_u32 v31, v29, 3, 0
	v_lshl_add_u32 v13, v25, 3, 0
	v_sub_u32_e32 v0, v7, v0
	v_fma_f32 v8, v8, 2.0, -v9
	v_fma_f32 v32, v32, 2.0, -v33
	ds_write_b64 v31, v[36:37]
	ds_write_b64 v13, v[5:6]
	s_load_dwordx2 s[0:1], s[2:3], 0x0
	s_waitcnt lgkmcnt(0)
	; wave barrier
	s_waitcnt lgkmcnt(0)
	v_add_u32_e32 v23, 0x400, v0
	v_add_u32_e32 v19, 0x800, v0
	;; [unrolled: 1-line block ×3, first 2 shown]
	ds_read2_b32 v[5:6], v0 offset1:56
	ds_read2_b32 v[36:37], v23 offset0:80 offset1:136
	ds_read2_b32 v[38:39], v23 offset0:192 offset1:248
	;; [unrolled: 1-line block ×6, first 2 shown]
	s_waitcnt lgkmcnt(0)
	; wave barrier
	s_waitcnt lgkmcnt(0)
	ds_write_b64 v31, v[8:9]
	v_sub_f32_e32 v8, v10, v28
	ds_write_b64 v7, v[32:33]
	v_fma_f32 v7, v10, 2.0, -v8
	ds_write_b64 v34, v[7:8]
	v_sub_f32_e32 v8, v18, v20
	v_fma_f32 v7, v18, 2.0, -v8
	ds_write_b64 v48, v[7:8]
	v_sub_f32_e32 v8, v22, v16
	v_fma_f32 v7, v22, 2.0, -v8
	ds_write_b64 v49, v[7:8]
	v_sub_f32_e32 v8, v24, v12
	v_fma_f32 v7, v24, 2.0, -v8
	v_sub_f32_e32 v10, v26, v14
	v_and_b32_e32 v14, 1, v35
	v_fma_f32 v9, v26, 2.0, -v10
	ds_write_b64 v11, v[7:8]
	ds_write_b64 v13, v[9:10]
	v_lshlrev_b32_e32 v7, 3, v14
	s_waitcnt lgkmcnt(0)
	; wave barrier
	s_waitcnt lgkmcnt(0)
	global_load_dwordx2 v[7:8], v7, s[12:13]
	ds_read2_b32 v[9:10], v23 offset0:192 offset1:248
	ds_read2_b32 v[11:12], v19 offset0:48 offset1:104
	s_movk_i32 s2, 0x7c
	v_lshlrev_b32_e32 v48, 1, v15
	s_movk_i32 s3, 0x2fc
	s_movk_i32 s4, 0x2f0
	s_mov_b32 s5, 0xbf3bfb3b
	s_mov_b32 s6, 0x3eae86e6
	s_waitcnt vmcnt(0)
	v_mul_f32_e32 v13, v38, v8
	v_mul_f32_e32 v20, v39, v8
	s_waitcnt lgkmcnt(1)
	v_fma_f32 v22, v9, v7, -v13
	v_mul_f32_e32 v13, v42, v8
	v_mul_f32_e32 v28, v43, v8
	;; [unrolled: 1-line block ×4, first 2 shown]
	v_fma_f32 v20, v10, v7, -v20
	s_waitcnt lgkmcnt(0)
	v_mul_f32_e32 v24, v11, v8
	v_mul_f32_e32 v26, v12, v8
	ds_read2_b32 v[9:10], v19 offset0:160 offset1:216
	v_fma_f32 v34, v11, v7, -v13
	v_fma_f32 v28, v12, v7, -v28
	ds_read2_b32 v[11:12], v23 offset0:80 offset1:136
	v_mul_f32_e32 v13, v46, v8
	v_fmac_f32_e32 v16, v38, v7
	s_waitcnt lgkmcnt(1)
	v_mul_f32_e32 v30, v9, v8
	v_fma_f32 v38, v9, v7, -v13
	s_waitcnt lgkmcnt(0)
	v_mul_f32_e32 v9, v12, v8
	v_mul_f32_e32 v31, v10, v8
	;; [unrolled: 1-line block ×3, first 2 shown]
	v_fmac_f32_e32 v9, v37, v7
	v_mul_f32_e32 v8, v37, v8
	v_lshlrev_b32_e32 v37, 1, v35
	v_fmac_f32_e32 v24, v42, v7
	v_sub_f32_e32 v33, v5, v9
	v_and_or_b32 v42, v37, s2, v14
	v_fmac_f32_e32 v26, v43, v7
	v_lshl_add_u32 v42, v42, 2, 0
	v_fma_f32 v5, v5, 2.0, -v33
	s_movk_i32 s2, 0xfc
	v_lshlrev_b32_e32 v43, 1, v29
	v_fmac_f32_e32 v18, v39, v7
	v_fmac_f32_e32 v30, v46, v7
	v_fmac_f32_e32 v31, v47, v7
	v_fma_f32 v39, v10, v7, -v32
	v_fma_f32 v32, v12, v7, -v8
	ds_read2_b32 v[7:8], v0 offset1:56
	ds_read2_b32 v[9:10], v0 offset0:112 offset1:168
	ds_read2_b32 v[12:13], v21 offset0:96 offset1:152
	s_waitcnt lgkmcnt(0)
	; wave barrier
	s_waitcnt lgkmcnt(0)
	ds_write2_b32 v42, v5, v33 offset1:2
	v_sub_f32_e32 v5, v6, v16
	v_and_or_b32 v16, v43, s2, v14
	v_fma_f32 v6, v6, 2.0, -v5
	v_lshl_add_u32 v46, v16, 2, 0
	v_lshlrev_b32_e32 v47, 1, v27
	s_movk_i32 s2, 0x1fc
	ds_write2_b32 v46, v6, v5 offset1:2
	v_sub_f32_e32 v5, v40, v18
	v_and_or_b32 v6, v47, s2, v14
	v_lshl_add_u32 v18, v6, 2, 0
	v_fma_f32 v6, v40, 2.0, -v5
	v_lshlrev_b32_e32 v40, 1, v17
	ds_write2_b32 v18, v6, v5 offset1:2
	v_sub_f32_e32 v5, v41, v24
	v_and_or_b32 v16, v40, s2, v14
	v_fma_f32 v6, v41, 2.0, -v5
	v_lshl_add_u32 v41, v16, 2, 0
	s_movk_i32 s2, 0x3fc
	ds_write2_b32 v41, v6, v5 offset1:2
	v_sub_f32_e32 v5, v44, v26
	v_and_or_b32 v6, v48, s2, v14
	v_lshl_add_u32 v49, v6, 2, 0
	v_fma_f32 v6, v44, 2.0, -v5
	v_lshlrev_b32_e32 v44, 1, v50
	ds_write2_b32 v49, v6, v5 offset1:2
	v_sub_f32_e32 v5, v45, v30
	v_and_or_b32 v15, v44, s3, v14
	v_fma_f32 v6, v45, 2.0, -v5
	v_lshl_add_u32 v45, v15, 2, 0
	ds_write2_b32 v45, v6, v5 offset1:2
	v_sub_f32_e32 v5, v36, v31
	v_fma_f32 v6, v36, 2.0, -v5
	v_lshlrev_b32_e32 v36, 1, v25
	v_and_or_b32 v14, v36, s2, v14
	v_sub_f32_e32 v51, v7, v32
	v_lshl_add_u32 v50, v14, 2, 0
	v_fma_f32 v7, v7, 2.0, -v51
	ds_write2_b32 v50, v6, v5 offset1:2
	s_waitcnt lgkmcnt(0)
	; wave barrier
	s_waitcnt lgkmcnt(0)
	ds_read2_b32 v[5:6], v0 offset1:56
	ds_read2_b32 v[14:15], v23 offset0:80 offset1:136
	ds_read2_b32 v[16:17], v23 offset0:192 offset1:248
	;; [unrolled: 1-line block ×6, first 2 shown]
	s_waitcnt lgkmcnt(0)
	; wave barrier
	s_waitcnt lgkmcnt(0)
	ds_write2_b32 v42, v7, v51 offset1:2
	v_sub_f32_e32 v7, v8, v22
	v_fma_f32 v8, v8, 2.0, -v7
	ds_write2_b32 v46, v8, v7 offset1:2
	v_sub_f32_e32 v7, v9, v20
	v_fma_f32 v8, v9, 2.0, -v7
	;; [unrolled: 3-line block ×6, first 2 shown]
	v_and_b32_e32 v18, 3, v35
	ds_write2_b32 v50, v8, v7 offset1:2
	v_lshlrev_b32_e32 v7, 3, v18
	s_waitcnt lgkmcnt(0)
	; wave barrier
	s_waitcnt lgkmcnt(0)
	global_load_dwordx2 v[7:8], v7, s[12:13] offset:16
	ds_read2_b32 v[9:10], v23 offset0:192 offset1:248
	ds_read2_b32 v[11:12], v19 offset0:48 offset1:104
	s_movk_i32 s2, 0x78
	s_movk_i32 s3, 0x2f8
	s_waitcnt vmcnt(0) lgkmcnt(1)
	v_mul_f32_e32 v20, v9, v8
	v_fmac_f32_e32 v20, v16, v7
	v_mul_f32_e32 v13, v16, v8
	v_mul_f32_e32 v16, v17, v8
	v_fma_f32 v34, v10, v7, -v16
	s_waitcnt lgkmcnt(0)
	v_mul_f32_e32 v16, v11, v8
	v_mul_f32_e32 v22, v10, v8
	v_fma_f32 v28, v9, v7, -v13
	v_fmac_f32_e32 v16, v26, v7
	v_mul_f32_e32 v13, v26, v8
	v_mul_f32_e32 v26, v27, v8
	v_fmac_f32_e32 v22, v17, v7
	v_mul_f32_e32 v17, v12, v8
	ds_read2_b32 v[9:10], v19 offset0:160 offset1:216
	v_fma_f32 v38, v11, v7, -v13
	v_fma_f32 v39, v12, v7, -v26
	ds_read2_b32 v[11:12], v23 offset0:80 offset1:136
	v_mul_f32_e32 v13, v32, v8
	s_waitcnt lgkmcnt(1)
	v_mul_f32_e32 v26, v9, v8
	v_fma_f32 v41, v9, v7, -v13
	v_fmac_f32_e32 v17, v27, v7
	s_waitcnt lgkmcnt(0)
	v_mul_f32_e32 v9, v12, v8
	v_fmac_f32_e32 v26, v32, v7
	v_mul_f32_e32 v27, v10, v8
	v_mul_f32_e32 v32, v33, v8
	v_fmac_f32_e32 v9, v15, v7
	v_fmac_f32_e32 v27, v33, v7
	v_fma_f32 v42, v10, v7, -v32
	v_sub_f32_e32 v32, v5, v9
	v_and_or_b32 v33, v37, s2, v18
	v_mul_f32_e32 v8, v15, v8
	v_lshl_add_u32 v45, v33, 2, 0
	v_fma_f32 v5, v5, 2.0, -v32
	s_movk_i32 s2, 0xf8
	v_fma_f32 v15, v12, v7, -v8
	ds_read2_b32 v[7:8], v0 offset1:56
	ds_read2_b32 v[9:10], v0 offset0:112 offset1:168
	ds_read2_b32 v[12:13], v21 offset0:96 offset1:152
	s_waitcnt lgkmcnt(0)
	; wave barrier
	s_waitcnt lgkmcnt(0)
	ds_write2_b32 v45, v5, v32 offset1:4
	v_sub_f32_e32 v5, v6, v20
	v_and_or_b32 v20, v43, s2, v18
	v_fma_f32 v6, v6, 2.0, -v5
	v_lshl_add_u32 v20, v20, 2, 0
	s_movk_i32 s2, 0x1f8
	ds_write2_b32 v20, v6, v5 offset1:4
	v_sub_f32_e32 v5, v24, v22
	v_and_or_b32 v6, v47, s2, v18
	v_lshl_add_u32 v22, v6, 2, 0
	v_fma_f32 v6, v24, 2.0, -v5
	ds_write2_b32 v22, v6, v5 offset1:4
	v_sub_f32_e32 v5, v25, v16
	v_and_or_b32 v16, v40, s2, v18
	v_fma_f32 v6, v25, 2.0, -v5
	v_lshl_add_u32 v46, v16, 2, 0
	s_movk_i32 s2, 0x3f8
	ds_write2_b32 v46, v6, v5 offset1:4
	v_sub_f32_e32 v5, v30, v17
	v_and_or_b32 v6, v48, s2, v18
	v_lshl_add_u32 v49, v6, 2, 0
	v_fma_f32 v6, v30, 2.0, -v5
	ds_write2_b32 v49, v6, v5 offset1:4
	v_sub_f32_e32 v5, v31, v26
	v_and_or_b32 v16, v44, s3, v18
	v_fma_f32 v6, v31, 2.0, -v5
	v_lshl_add_u32 v50, v16, 2, 0
	ds_write2_b32 v50, v6, v5 offset1:4
	v_sub_f32_e32 v5, v14, v27
	v_fma_f32 v6, v14, 2.0, -v5
	v_and_or_b32 v14, v36, s2, v18
	v_sub_f32_e32 v51, v7, v15
	v_lshl_add_u32 v18, v14, 2, 0
	v_fma_f32 v7, v7, 2.0, -v51
	ds_write2_b32 v18, v6, v5 offset1:4
	s_waitcnt lgkmcnt(0)
	; wave barrier
	s_waitcnt lgkmcnt(0)
	ds_read2_b32 v[5:6], v0 offset1:56
	ds_read2_b32 v[14:15], v23 offset0:80 offset1:136
	ds_read2_b32 v[16:17], v23 offset0:192 offset1:248
	;; [unrolled: 1-line block ×6, first 2 shown]
	s_waitcnt lgkmcnt(0)
	; wave barrier
	s_waitcnt lgkmcnt(0)
	ds_write2_b32 v45, v7, v51 offset1:4
	v_sub_f32_e32 v7, v8, v28
	v_fma_f32 v8, v8, 2.0, -v7
	ds_write2_b32 v20, v8, v7 offset1:4
	v_sub_f32_e32 v7, v9, v34
	v_fma_f32 v8, v9, 2.0, -v7
	;; [unrolled: 3-line block ×6, first 2 shown]
	ds_write2_b32 v18, v8, v7 offset1:4
	v_and_b32_e32 v18, 7, v35
	v_lshlrev_b32_e32 v7, 3, v18
	s_waitcnt lgkmcnt(0)
	; wave barrier
	s_waitcnt lgkmcnt(0)
	global_load_dwordx2 v[7:8], v7, s[12:13] offset:48
	ds_read2_b32 v[9:10], v23 offset0:192 offset1:248
	ds_read2_b32 v[11:12], v19 offset0:48 offset1:104
	s_movk_i32 s2, 0x70
	v_and_or_b32 v37, v37, s2, v18
	v_lshl_add_u32 v37, v37, 2, 0
	s_movk_i32 s3, 0xf0
	s_waitcnt vmcnt(0) lgkmcnt(1)
	v_mul_f32_e32 v20, v9, v8
	v_mul_f32_e32 v22, v10, v8
	v_fmac_f32_e32 v20, v16, v7
	v_fmac_f32_e32 v22, v17, v7
	v_mul_f32_e32 v13, v16, v8
	v_mul_f32_e32 v16, v17, v8
	s_waitcnt lgkmcnt(0)
	v_mul_f32_e32 v17, v11, v8
	v_fma_f32 v28, v9, v7, -v13
	v_fma_f32 v16, v10, v7, -v16
	v_fmac_f32_e32 v17, v26, v7
	v_mul_f32_e32 v34, v12, v8
	ds_read2_b32 v[9:10], v19 offset0:160 offset1:216
	v_mul_f32_e32 v13, v26, v8
	v_mul_f32_e32 v26, v27, v8
	v_fmac_f32_e32 v34, v27, v7
	v_fma_f32 v27, v11, v7, -v13
	v_fma_f32 v26, v12, v7, -v26
	ds_read2_b32 v[11:12], v23 offset0:80 offset1:136
	s_waitcnt lgkmcnt(1)
	v_mul_f32_e32 v38, v9, v8
	v_mul_f32_e32 v39, v10, v8
	;; [unrolled: 1-line block ×3, first 2 shown]
	v_fmac_f32_e32 v38, v32, v7
	v_fmac_f32_e32 v39, v33, v7
	v_mul_f32_e32 v32, v33, v8
	v_fma_f32 v33, v9, v7, -v13
	s_waitcnt lgkmcnt(0)
	v_mul_f32_e32 v9, v12, v8
	v_fmac_f32_e32 v9, v15, v7
	v_sub_f32_e32 v41, v5, v9
	v_mul_f32_e32 v8, v15, v8
	v_fma_f32 v5, v5, 2.0, -v41
	v_fma_f32 v32, v10, v7, -v32
	v_fma_f32 v15, v12, v7, -v8
	ds_read2_b32 v[7:8], v0 offset1:56
	ds_read2_b32 v[9:10], v0 offset0:112 offset1:168
	ds_read2_b32 v[12:13], v21 offset0:96 offset1:152
	s_waitcnt lgkmcnt(0)
	; wave barrier
	s_waitcnt lgkmcnt(0)
	ds_write2_b32 v37, v5, v41 offset1:8
	v_sub_f32_e32 v5, v6, v20
	v_and_or_b32 v20, v43, s3, v18
	v_fma_f32 v6, v6, 2.0, -v5
	v_lshl_add_u32 v20, v20, 2, 0
	s_movk_i32 s3, 0x1f0
	ds_write2_b32 v20, v6, v5 offset1:8
	v_sub_f32_e32 v5, v24, v22
	v_and_or_b32 v6, v47, s3, v18
	v_lshl_add_u32 v6, v6, 2, 0
	v_fma_f32 v22, v24, 2.0, -v5
	ds_write2_b32 v6, v22, v5 offset1:8
	v_sub_f32_e32 v5, v25, v17
	v_and_or_b32 v22, v40, s3, v18
	v_fma_f32 v17, v25, 2.0, -v5
	v_lshl_add_u32 v22, v22, 2, 0
	s_movk_i32 s3, 0x3f0
	ds_write2_b32 v22, v17, v5 offset1:8
	v_sub_f32_e32 v5, v30, v34
	v_and_or_b32 v17, v48, s3, v18
	v_lshl_add_u32 v24, v17, 2, 0
	v_fma_f32 v17, v30, 2.0, -v5
	ds_write2_b32 v24, v17, v5 offset1:8
	v_sub_f32_e32 v5, v31, v38
	v_and_or_b32 v25, v44, s4, v18
	v_fma_f32 v17, v31, 2.0, -v5
	v_lshl_add_u32 v25, v25, 2, 0
	ds_write2_b32 v25, v17, v5 offset1:8
	v_sub_f32_e32 v5, v7, v15
	v_sub_f32_e32 v15, v14, v39
	v_and_or_b32 v17, v36, s3, v18
	v_fma_f32 v14, v14, 2.0, -v15
	v_lshl_add_u32 v30, v17, 2, 0
	v_fma_f32 v7, v7, 2.0, -v5
	ds_write2_b32 v30, v14, v15 offset1:8
	s_waitcnt lgkmcnt(0)
	; wave barrier
	s_waitcnt lgkmcnt(0)
	ds_read2_b32 v[17:18], v0 offset1:56
	ds_read2_b32 v[40:41], v0 offset0:112 offset1:168
	ds_read2_b32 v[42:43], v21 offset0:96 offset1:152
	;; [unrolled: 1-line block ×6, first 2 shown]
	s_waitcnt lgkmcnt(0)
	; wave barrier
	s_waitcnt lgkmcnt(0)
	ds_write2_b32 v37, v7, v5 offset1:8
	v_sub_f32_e32 v5, v8, v28
	v_fma_f32 v7, v8, 2.0, -v5
	ds_write2_b32 v20, v7, v5 offset1:8
	v_sub_f32_e32 v5, v9, v16
	v_fma_f32 v7, v9, 2.0, -v5
	ds_write2_b32 v6, v7, v5 offset1:8
	v_sub_f32_e32 v5, v10, v27
	v_sub_f32_e32 v7, v12, v26
	v_fma_f32 v6, v10, 2.0, -v5
	v_sub_f32_e32 v8, v13, v33
	v_fma_f32 v9, v12, 2.0, -v7
	v_sub_f32_e32 v12, v11, v32
	v_and_b32_e32 v20, 15, v35
	v_fma_f32 v10, v13, 2.0, -v8
	v_fma_f32 v11, v11, 2.0, -v12
	ds_write2_b32 v22, v6, v5 offset1:8
	ds_write2_b32 v24, v9, v7 offset1:8
	;; [unrolled: 1-line block ×4, first 2 shown]
	v_mul_u32_u24_e32 v5, 6, v20
	v_lshlrev_b32_e32 v22, 3, v5
	s_waitcnt lgkmcnt(0)
	; wave barrier
	s_waitcnt lgkmcnt(0)
	global_load_dwordx4 v[5:8], v22, s[12:13] offset:112
	v_and_b32_e32 v28, 15, v29
	v_mul_u32_u24_e32 v9, 6, v28
	v_lshlrev_b32_e32 v34, 3, v9
	global_load_dwordx4 v[9:12], v34, s[12:13] offset:112
	global_load_dwordx4 v[13:16], v22, s[12:13] offset:128
	;; [unrolled: 1-line block ×5, first 2 shown]
	ds_read2_b32 v[52:53], v0 offset0:112 offset1:168
	ds_read2_b32 v[54:55], v21 offset0:96 offset1:152
	s_mov_b32 s3, 0xbf5ff5aa
	s_mov_b32 s4, 0x3f3bfb3b
	s_waitcnt vmcnt(5) lgkmcnt(1)
	v_mul_f32_e32 v22, v52, v6
	v_mul_f32_e32 v6, v40, v6
	v_fmac_f32_e32 v22, v40, v5
	v_fma_f32 v34, v52, v5, -v6
	s_waitcnt lgkmcnt(0)
	v_mul_f32_e32 v40, v54, v8
	v_mul_f32_e32 v5, v42, v8
	v_fmac_f32_e32 v40, v42, v7
	v_fma_f32 v42, v54, v7, -v5
	s_waitcnt vmcnt(4)
	v_mul_f32_e32 v52, v53, v10
	v_mul_f32_e32 v5, v41, v10
	v_fmac_f32_e32 v52, v41, v9
	v_fma_f32 v41, v53, v9, -v5
	v_mul_f32_e32 v53, v55, v12
	v_mul_f32_e32 v7, v43, v12
	ds_read2_b32 v[5:6], v23 offset0:80 offset1:136
	v_fmac_f32_e32 v53, v43, v11
	v_fma_f32 v43, v55, v11, -v7
	ds_read2_b32 v[7:8], v23 offset0:192 offset1:248
	s_waitcnt vmcnt(3)
	v_mul_f32_e32 v10, v44, v14
	s_waitcnt lgkmcnt(1)
	v_mul_f32_e32 v9, v5, v14
	v_fma_f32 v10, v5, v13, -v10
	v_mul_f32_e32 v5, v46, v16
	s_waitcnt lgkmcnt(0)
	v_mul_f32_e32 v11, v7, v16
	v_fmac_f32_e32 v9, v44, v13
	v_fmac_f32_e32 v11, v46, v15
	v_fma_f32 v12, v7, v15, -v5
	s_waitcnt vmcnt(2)
	v_mul_f32_e32 v44, v6, v25
	v_mul_f32_e32 v5, v45, v25
	;; [unrolled: 1-line block ×4, first 2 shown]
	v_fmac_f32_e32 v44, v45, v24
	v_fma_f32 v45, v6, v24, -v5
	ds_read2_b32 v[5:6], v19 offset0:48 offset1:104
	v_fmac_f32_e32 v46, v47, v26
	v_fma_f32 v26, v8, v26, -v7
	ds_read2_b32 v[7:8], v19 offset0:160 offset1:216
	s_waitcnt vmcnt(1)
	v_mul_f32_e32 v14, v48, v31
	v_mul_f32_e32 v15, v50, v33
	s_waitcnt lgkmcnt(1)
	v_mul_f32_e32 v13, v5, v31
	v_fma_f32 v5, v5, v30, -v14
	s_waitcnt lgkmcnt(0)
	v_mul_f32_e32 v14, v7, v33
	v_fma_f32 v7, v7, v32, -v15
	s_waitcnt vmcnt(0)
	v_mul_f32_e32 v15, v49, v37
	v_fmac_f32_e32 v13, v48, v30
	v_fmac_f32_e32 v14, v50, v32
	v_mul_f32_e32 v27, v6, v37
	v_fma_f32 v30, v6, v36, -v15
	v_mul_f32_e32 v6, v51, v39
	v_mul_f32_e32 v31, v8, v39
	v_fma_f32 v32, v8, v38, -v6
	v_add_f32_e32 v6, v22, v14
	v_add_f32_e32 v8, v40, v13
	;; [unrolled: 1-line block ×4, first 2 shown]
	v_sub_f32_e32 v33, v8, v6
	v_sub_f32_e32 v6, v6, v15
	v_sub_f32_e32 v8, v15, v8
	v_add_f32_e32 v15, v15, v16
	v_sub_f32_e32 v24, v42, v5
	v_sub_f32_e32 v25, v12, v10
	v_fmac_f32_e32 v27, v49, v36
	v_sub_f32_e32 v16, v34, v7
	v_add_f32_e32 v36, v25, v24
	v_add_f32_e32 v17, v17, v15
	v_fmac_f32_e32 v31, v51, v38
	v_sub_f32_e32 v38, v16, v25
	v_sub_f32_e32 v39, v24, v16
	v_add_f32_e32 v16, v36, v16
	v_mov_b32_e32 v36, v17
	v_fmac_f32_e32 v36, 0xbf955555, v15
	v_lshrrev_b32_e32 v15, 4, v35
	v_sub_f32_e32 v37, v25, v24
	v_mul_u32_u24_e32 v15, 0x70, v15
	v_or_b32_e32 v15, v15, v20
	v_mul_f32_e32 v6, 0x3f4a47b2, v6
	v_mul_f32_e32 v20, 0x3f08b237, v37
	v_fma_f32 v37, v33, s5, -v6
	v_fmac_f32_e32 v6, 0x3d64c772, v8
	v_fma_f32 v47, v39, s3, -v20
	v_fmac_f32_e32 v20, 0xbeae86e6, v38
	v_add_f32_e32 v6, v6, v36
	v_fmac_f32_e32 v20, 0xbee1c552, v16
	v_lshl_add_u32 v48, v15, 2, 0
	v_add_f32_e32 v15, v20, v6
	ds_read2_b32 v[24:25], v0 offset1:56
	s_waitcnt lgkmcnt(0)
	; wave barrier
	s_waitcnt lgkmcnt(0)
	ds_write2_b32 v48, v17, v15 offset1:16
	v_mul_f32_e32 v8, 0x3d64c772, v8
	v_mul_f32_e32 v15, 0xbf5ff5aa, v39
	v_fma_f32 v8, v33, s4, -v8
	v_fma_f32 v15, v38, s6, -v15
	v_add_f32_e32 v8, v8, v36
	v_add_f32_e32 v17, v37, v36
	v_fmac_f32_e32 v47, 0xbee1c552, v16
	v_fmac_f32_e32 v15, 0xbee1c552, v16
	v_add_f32_e32 v16, v15, v17
	v_sub_f32_e32 v33, v8, v47
	v_add_f32_e32 v8, v47, v8
	v_sub_f32_e32 v15, v17, v15
	ds_write2_b32 v48, v8, v15 offset0:64 offset1:80
	v_add_f32_e32 v8, v52, v31
	v_add_f32_e32 v15, v53, v27
	ds_write2_b32 v48, v16, v33 offset0:32 offset1:48
	v_add_f32_e32 v16, v44, v46
	v_add_f32_e32 v17, v15, v8
	v_sub_f32_e32 v6, v6, v20
	v_sub_f32_e32 v20, v15, v8
	;; [unrolled: 1-line block ×4, first 2 shown]
	v_add_f32_e32 v16, v16, v17
	v_sub_f32_e32 v33, v43, v30
	v_sub_f32_e32 v36, v26, v45
	;; [unrolled: 1-line block ×3, first 2 shown]
	v_add_f32_e32 v37, v36, v33
	v_add_f32_e32 v18, v18, v16
	v_sub_f32_e32 v38, v36, v33
	v_sub_f32_e32 v36, v17, v36
	;; [unrolled: 1-line block ×3, first 2 shown]
	v_add_f32_e32 v17, v37, v17
	v_mov_b32_e32 v37, v18
	ds_write_b32 v48, v6 offset:384
	v_lshrrev_b32_e32 v6, 4, v29
	v_fmac_f32_e32 v37, 0xbf955555, v16
	v_mul_u32_u24_e32 v6, 0x70, v6
	v_mul_f32_e32 v8, 0x3f4a47b2, v8
	v_mul_f32_e32 v16, 0x3f08b237, v38
	v_or_b32_e32 v6, v6, v28
	v_fma_f32 v28, v20, s5, -v8
	v_fmac_f32_e32 v8, 0x3d64c772, v15
	v_fma_f32 v38, v33, s3, -v16
	v_fmac_f32_e32 v16, 0xbeae86e6, v36
	v_add_f32_e32 v8, v8, v37
	v_fmac_f32_e32 v16, 0xbee1c552, v17
	v_lshl_add_u32 v39, v6, 2, 0
	v_add_f32_e32 v6, v16, v8
	ds_write2_b32 v39, v18, v6 offset1:16
	v_mul_f32_e32 v6, 0x3d64c772, v15
	v_mul_f32_e32 v15, 0xbf5ff5aa, v33
	v_fma_f32 v6, v20, s4, -v6
	v_fma_f32 v15, v36, s6, -v15
	v_add_f32_e32 v6, v6, v37
	v_add_f32_e32 v18, v28, v37
	v_fmac_f32_e32 v38, 0xbee1c552, v17
	v_fmac_f32_e32 v15, 0xbee1c552, v17
	v_sub_f32_e32 v20, v6, v38
	v_add_f32_e32 v7, v34, v7
	v_add_f32_e32 v5, v42, v5
	v_sub_f32_e32 v9, v11, v9
	v_add_f32_e32 v6, v38, v6
	v_sub_f32_e32 v11, v18, v15
	v_add_f32_e32 v17, v15, v18
	v_add_f32_e32 v10, v10, v12
	ds_write2_b32 v39, v6, v11 offset0:64 offset1:80
	v_add_f32_e32 v6, v5, v7
	ds_write2_b32 v39, v17, v20 offset0:32 offset1:48
	v_sub_f32_e32 v14, v22, v14
	v_sub_f32_e32 v13, v40, v13
	;; [unrolled: 1-line block ×4, first 2 shown]
	v_add_f32_e32 v5, v10, v6
	v_sub_f32_e32 v7, v7, v10
	v_add_f32_e32 v6, v9, v13
	v_sub_f32_e32 v10, v9, v13
	;; [unrolled: 2-line block ×3, first 2 shown]
	v_sub_f32_e32 v33, v13, v14
	v_add_f32_e32 v34, v6, v14
	v_mov_b32_e32 v36, v24
	v_mul_f32_e32 v6, 0x3f4a47b2, v7
	v_mul_f32_e32 v37, 0x3f08b237, v10
	v_fmac_f32_e32 v36, 0xbf955555, v5
	v_fma_f32 v38, v20, s5, -v6
	v_fmac_f32_e32 v6, 0x3d64c772, v22
	v_fma_f32 v40, v33, s3, -v37
	v_fmac_f32_e32 v37, 0xbeae86e6, v28
	v_mul_f32_e32 v22, 0x3d64c772, v22
	v_add_f32_e32 v42, v6, v36
	v_fmac_f32_e32 v37, 0xbee1c552, v34
	v_fma_f32 v20, v20, s4, -v22
	v_mul_f32_e32 v22, 0xbf5ff5aa, v33
	v_sub_f32_e32 v5, v8, v16
	v_sub_f32_e32 v47, v42, v37
	v_fma_f32 v22, v28, s6, -v22
	ds_write_b32 v39, v5 offset:384
	s_waitcnt lgkmcnt(0)
	; wave barrier
	s_waitcnt lgkmcnt(0)
	ds_read2_b32 v[5:6], v0 offset1:56
	ds_read2_b32 v[11:12], v0 offset0:112 offset1:168
	ds_read2_b32 v[7:8], v21 offset0:96 offset1:152
	;; [unrolled: 1-line block ×6, first 2 shown]
	s_waitcnt lgkmcnt(0)
	; wave barrier
	s_waitcnt lgkmcnt(0)
	ds_write2_b32 v48, v24, v47 offset1:16
	v_add_f32_e32 v20, v20, v36
	v_add_f32_e32 v24, v38, v36
	v_fmac_f32_e32 v40, 0xbee1c552, v34
	v_fmac_f32_e32 v22, 0xbee1c552, v34
	v_sub_f32_e32 v28, v24, v22
	v_add_f32_e32 v33, v40, v20
	ds_write2_b32 v48, v28, v33 offset0:32 offset1:48
	v_add_f32_e32 v28, v41, v32
	v_add_f32_e32 v30, v43, v30
	;; [unrolled: 1-line block ×4, first 2 shown]
	v_sub_f32_e32 v27, v53, v27
	v_sub_f32_e32 v32, v46, v44
	;; [unrolled: 1-line block ×5, first 2 shown]
	v_add_f32_e32 v26, v26, v33
	v_sub_f32_e32 v31, v52, v31
	v_add_f32_e32 v33, v32, v27
	v_add_f32_e32 v25, v25, v26
	v_sub_f32_e32 v36, v32, v27
	v_sub_f32_e32 v32, v31, v32
	;; [unrolled: 1-line block ×3, first 2 shown]
	v_add_f32_e32 v31, v33, v31
	v_mov_b32_e32 v33, v25
	v_fmac_f32_e32 v33, 0xbf955555, v26
	v_mul_f32_e32 v26, 0x3f4a47b2, v28
	v_mul_f32_e32 v28, 0x3d64c772, v30
	v_fma_f32 v28, v34, s4, -v28
	v_fma_f32 v34, v34, s5, -v26
	v_fmac_f32_e32 v26, 0x3d64c772, v30
	v_mul_f32_e32 v30, 0x3f08b237, v36
	v_mul_f32_e32 v36, 0xbf5ff5aa, v27
	v_fma_f32 v27, v27, s3, -v30
	v_fmac_f32_e32 v30, 0xbeae86e6, v32
	v_fma_f32 v32, v32, s6, -v36
	v_sub_f32_e32 v20, v20, v40
	v_add_f32_e32 v22, v22, v24
	v_add_f32_e32 v26, v26, v33
	;; [unrolled: 1-line block ×4, first 2 shown]
	v_fmac_f32_e32 v30, 0xbee1c552, v31
	v_fmac_f32_e32 v27, 0xbee1c552, v31
	;; [unrolled: 1-line block ×3, first 2 shown]
	v_add_f32_e32 v24, v37, v42
	v_add_f32_e32 v31, v27, v28
	v_sub_f32_e32 v27, v28, v27
	v_sub_f32_e32 v28, v33, v32
	v_add_f32_e32 v32, v32, v33
	v_sub_f32_e32 v33, v26, v30
	v_add_f32_e32 v26, v30, v26
	ds_write2_b32 v48, v20, v22 offset0:64 offset1:80
	ds_write_b32 v48, v24 offset:384
	ds_write2_b32 v39, v25, v33 offset1:16
	ds_write2_b32 v39, v28, v31 offset0:32 offset1:48
	ds_write2_b32 v39, v27, v32 offset0:64 offset1:80
	ds_write_b32 v39, v26 offset:384
	s_waitcnt lgkmcnt(0)
	; wave barrier
	s_waitcnt lgkmcnt(0)
	s_and_saveexec_b64 s[8:9], vcc
	s_cbranch_execz .LBB0_15
; %bb.14:
	v_mul_u32_u24_e32 v20, 6, v29
	v_lshlrev_b32_e32 v20, 3, v20
	global_load_dwordx4 v[24:27], v20, s[12:13] offset:880
	global_load_dwordx4 v[28:31], v20, s[12:13] offset:912
	;; [unrolled: 1-line block ×3, first 2 shown]
	v_mul_lo_u32 v34, s1, v3
	v_mul_lo_u32 v52, s0, v4
	v_mad_u64_u32 v[3:4], s[0:1], s0, v3, 0
	ds_read2_b32 v[32:33], v0 offset0:112 offset1:168
	ds_read2_b32 v[40:41], v19 offset0:160 offset1:216
	;; [unrolled: 1-line block ×6, first 2 shown]
	ds_read2_b32 v[50:51], v0 offset1:56
	v_mul_u32_u24_e32 v0, 6, v35
	v_add3_u32 v4, v4, v52, v34
	v_lshlrev_b32_e32 v0, 3, v0
	global_load_dwordx4 v[19:22], v0, s[12:13] offset:880
	s_mov_b32 s0, 0x24924925
	v_lshlrev_b64 v[3:4], 3, v[3:4]
	v_add_co_u32_e32 v3, vcc, s10, v3
	s_waitcnt vmcnt(3)
	v_mul_f32_e32 v23, v12, v24
	s_waitcnt vmcnt(2) lgkmcnt(5)
	v_mul_f32_e32 v34, v31, v41
	s_waitcnt lgkmcnt(2)
	v_mul_f32_e32 v54, v27, v47
	s_waitcnt lgkmcnt(1)
	v_mul_f32_e32 v55, v29, v49
	v_mul_f32_e32 v31, v14, v31
	;; [unrolled: 1-line block ×5, first 2 shown]
	s_waitcnt vmcnt(1)
	v_mul_f32_e32 v52, v39, v43
	v_mul_f32_e32 v53, v37, v45
	;; [unrolled: 1-line block ×4, first 2 shown]
	v_fmac_f32_e32 v34, v14, v30
	v_fmac_f32_e32 v54, v8, v26
	v_fmac_f32_e32 v55, v10, v28
	v_fma_f32 v8, v30, v41, -v31
	v_fma_f32 v10, v33, v24, -v12
	;; [unrolled: 1-line block ×4, first 2 shown]
	v_fmac_f32_e32 v52, v16, v38
	v_fmac_f32_e32 v53, v18, v36
	v_fma_f32 v16, v36, v45, -v37
	v_fma_f32 v18, v38, v43, -v39
	v_fmac_f32_e32 v23, v33, v25
	v_add_f32_e32 v27, v10, v8
	v_add_f32_e32 v29, v14, v12
	v_sub_f32_e32 v24, v23, v34
	v_sub_f32_e32 v25, v52, v53
	;; [unrolled: 1-line block ×3, first 2 shown]
	v_add_f32_e32 v28, v18, v16
	v_add_f32_e32 v23, v23, v34
	;; [unrolled: 1-line block ×5, first 2 shown]
	v_sub_f32_e32 v8, v10, v8
	v_sub_f32_e32 v10, v18, v16
	v_sub_f32_e32 v12, v14, v12
	v_sub_f32_e32 v14, v24, v25
	v_sub_f32_e32 v16, v25, v26
	v_add_f32_e32 v18, v25, v26
	v_sub_f32_e32 v25, v27, v28
	v_sub_f32_e32 v33, v28, v29
	v_add_f32_e32 v37, v23, v31
	v_sub_f32_e32 v26, v26, v24
	v_add_f32_e32 v28, v28, v34
	v_sub_f32_e32 v36, v23, v30
	v_sub_f32_e32 v38, v30, v31
	;; [unrolled: 1-line block ×4, first 2 shown]
	v_mul_f32_e32 v16, 0x3f08b237, v16
	v_mul_f32_e32 v29, 0x3d64c772, v33
	v_add_f32_e32 v30, v30, v37
	v_mul_f32_e32 v33, 0xbf5ff5aa, v26
	s_waitcnt lgkmcnt(0)
	v_add_f32_e32 v34, v51, v28
	v_sub_f32_e32 v39, v8, v10
	v_sub_f32_e32 v23, v31, v23
	v_add_f32_e32 v18, v24, v18
	v_mul_f32_e32 v24, 0x3f4a47b2, v25
	v_mul_f32_e32 v31, 0x3f08b237, v41
	v_mov_b32_e32 v41, v16
	v_mov_b32_e32 v37, v29
	v_fma_f32 v43, v14, s6, -v33
	v_add_f32_e32 v33, v6, v30
	v_mov_b32_e32 v6, v34
	v_add_f32_e32 v10, v10, v12
	v_fmac_f32_e32 v41, 0xbeae86e6, v14
	v_fmac_f32_e32 v37, 0x3f4a47b2, v25
	;; [unrolled: 1-line block ×3, first 2 shown]
	v_mov_b32_e32 v14, v33
	v_add_f32_e32 v10, v8, v10
	v_fma_f32 v24, v27, s5, -v24
	v_sub_f32_e32 v8, v12, v8
	v_fma_f32 v25, v27, s4, -v29
	v_mul_f32_e32 v27, 0x3d64c772, v38
	v_fmac_f32_e32 v14, 0xbf955555, v30
	v_mov_b32_e32 v30, v31
	v_mul_f32_e32 v12, 0xbf5ff5aa, v8
	v_add_f32_e32 v29, v24, v6
	v_mov_b32_e32 v24, v27
	v_add_f32_e32 v28, v37, v6
	v_fmac_f32_e32 v30, 0xbeae86e6, v39
	v_fma_f32 v12, v39, s6, -v12
	v_add_f32_e32 v6, v25, v6
	v_fmac_f32_e32 v24, 0x3f4a47b2, v36
	v_mul_f32_e32 v25, 0x3f4a47b2, v36
	v_fma_f32 v16, v26, s3, -v16
	v_fma_f32 v8, v8, s3, -v31
	v_fmac_f32_e32 v41, 0xbee1c552, v18
	v_add_f32_e32 v45, v24, v14
	v_fmac_f32_e32 v30, 0xbee1c552, v10
	v_fmac_f32_e32 v43, 0xbee1c552, v18
	;; [unrolled: 1-line block ×3, first 2 shown]
	v_fma_f32 v18, v23, s5, -v25
	v_fmac_f32_e32 v12, 0xbee1c552, v10
	v_fmac_f32_e32 v8, 0xbee1c552, v10
	v_fma_f32 v10, v23, s4, -v27
	global_load_dwordx4 v[23:26], v0, s[12:13] offset:896
	v_add_f32_e32 v37, v41, v28
	v_sub_f32_e32 v36, v45, v30
	v_add_f32_e32 v39, v43, v29
	v_sub_f32_e32 v56, v29, v43
	v_sub_f32_e32 v58, v28, v41
	v_add_f32_e32 v57, v30, v45
	global_load_dwordx4 v[27:30], v0, s[12:13] offset:912
	v_add_f32_e32 v18, v18, v14
	v_sub_f32_e32 v52, v6, v16
	v_add_f32_e32 v54, v16, v6
	v_sub_f32_e32 v38, v18, v12
	v_add_f32_e32 v55, v12, v18
	v_add_f32_e32 v10, v10, v14
	;; [unrolled: 1-line block ×3, first 2 shown]
	v_sub_f32_e32 v53, v10, v8
	s_waitcnt vmcnt(2)
	v_mul_f32_e32 v10, v11, v19
	v_fmac_f32_e32 v10, v32, v20
	s_waitcnt vmcnt(1)
	v_mul_f32_e32 v0, v17, v23
	v_mul_f32_e32 v6, v17, v24
	v_fmac_f32_e32 v0, v44, v24
	v_fma_f32 v12, v44, v23, -v6
	v_mul_f32_e32 v16, v15, v25
	v_mul_f32_e32 v23, v7, v21
	;; [unrolled: 1-line block ×3, first 2 shown]
	s_waitcnt vmcnt(0)
	v_mul_f32_e32 v24, v9, v27
	v_fmac_f32_e32 v16, v42, v26
	v_fmac_f32_e32 v23, v46, v22
	;; [unrolled: 1-line block ×3, first 2 shown]
	v_mul_f32_e32 v14, v13, v29
	v_fma_f32 v17, v42, v25, -v6
	v_sub_f32_e32 v6, v16, v0
	v_sub_f32_e32 v25, v23, v24
	v_add_f32_e32 v0, v16, v0
	v_add_f32_e32 v23, v23, v24
	v_fmac_f32_e32 v14, v40, v30
	v_sub_f32_e32 v24, v0, v23
	v_sub_f32_e32 v15, v10, v14
	v_add_f32_e32 v14, v10, v14
	v_mul_f32_e32 v24, 0x3d64c772, v24
	v_sub_f32_e32 v10, v14, v0
	v_mov_b32_e32 v31, v24
	v_sub_f32_e32 v18, v15, v6
	v_sub_f32_e32 v8, v6, v25
	v_add_f32_e32 v6, v6, v25
	v_mul_f32_e32 v9, v9, v28
	v_mul_f32_e32 v7, v7, v22
	;; [unrolled: 1-line block ×3, first 2 shown]
	v_fmac_f32_e32 v31, 0x3f4a47b2, v10
	v_add_f32_e32 v10, v14, v23
	v_mul_f32_e32 v26, 0x3f08b237, v8
	v_mul_f32_e32 v8, v13, v30
	v_add_f32_e32 v13, v15, v6
	v_mul_f32_e32 v6, v11, v20
	v_fma_f32 v9, v48, v27, -v9
	v_fma_f32 v7, v46, v21, -v7
	v_add_f32_e32 v0, v0, v10
	v_fma_f32 v29, v40, v29, -v8
	v_fma_f32 v11, v32, v19, -v6
	v_add_f32_e32 v6, v17, v12
	v_add_f32_e32 v21, v7, v9
	;; [unrolled: 1-line block ×3, first 2 shown]
	v_sub_f32_e32 v10, v17, v12
	v_sub_f32_e32 v9, v7, v9
	v_add_f32_e32 v19, v11, v29
	v_sub_f32_e32 v22, v6, v21
	v_mov_b32_e32 v32, v5
	v_sub_f32_e32 v11, v11, v29
	v_sub_f32_e32 v7, v10, v9
	;; [unrolled: 1-line block ×3, first 2 shown]
	v_mov_b32_e32 v30, v26
	v_mul_f32_e32 v22, 0x3d64c772, v22
	v_fmac_f32_e32 v32, 0xbf955555, v0
	v_sub_f32_e32 v12, v11, v10
	v_mul_f32_e32 v17, 0x3f08b237, v7
	v_add_f32_e32 v7, v10, v9
	v_mul_f32_e32 v10, 0xbf5ff5aa, v15
	v_fmac_f32_e32 v30, 0xbeae86e6, v18
	v_sub_f32_e32 v8, v19, v6
	v_mov_b32_e32 v27, v22
	v_add_f32_e32 v0, v31, v32
	v_add_f32_e32 v31, v11, v7
	v_fma_f32 v18, v18, s6, -v10
	v_sub_f32_e32 v14, v23, v14
	v_sub_f32_e32 v11, v9, v11
	v_fma_f32 v15, v15, s3, -v26
	v_fmac_f32_e32 v30, 0xbee1c552, v13
	v_mul_f32_e32 v20, 0x3f4a47b2, v8
	v_fmac_f32_e32 v27, 0x3f4a47b2, v8
	v_add_f32_e32 v8, v19, v21
	v_mov_b32_e32 v29, v17
	v_fmac_f32_e32 v18, 0xbee1c552, v13
	v_sub_f32_e32 v19, v21, v19
	v_fma_f32 v16, v14, s5, -v16
	v_mul_f32_e32 v9, 0xbf5ff5aa, v11
	v_fmac_f32_e32 v15, 0xbee1c552, v13
	v_fma_f32 v13, v11, s3, -v17
	v_fma_f32 v11, v14, s4, -v24
	v_lshrrev_b32_e32 v14, 4, v35
	v_fmac_f32_e32 v29, 0xbeae86e6, v12
	v_fma_f32 v10, v19, s5, -v20
	v_fma_f32 v23, v12, s6, -v9
	;; [unrolled: 1-line block ×3, first 2 shown]
	v_mul_hi_u32 v19, v14, s0
	v_add_f32_e32 v8, v6, v8
	v_add_f32_e32 v6, v50, v8
	v_fmac_f32_e32 v29, 0xbee1c552, v31
	v_fmac_f32_e32 v13, 0xbee1c552, v31
	v_add_f32_e32 v17, v11, v32
	v_mul_lo_u32 v19, v19, s2
	v_mov_b32_e32 v28, v6
	v_sub_f32_e32 v7, v0, v29
	v_add_f32_e32 v11, v13, v17
	v_sub_f32_e32 v13, v17, v13
	v_add_f32_e32 v17, v29, v0
	v_mov_b32_e32 v0, s11
	v_fmac_f32_e32 v28, 0xbf955555, v8
	v_addc_co_u32_e32 v4, vcc, v0, v4, vcc
	v_lshlrev_b64 v[0:1], 3, v[1:2]
	v_add_f32_e32 v20, v10, v28
	v_add_f32_e32 v21, v16, v32
	;; [unrolled: 1-line block ×4, first 2 shown]
	v_fmac_f32_e32 v23, 0xbee1c552, v31
	v_sub_f32_e32 v12, v16, v15
	v_add_f32_e32 v14, v15, v16
	v_sub_f32_e32 v16, v20, v18
	v_sub_u32_e32 v19, v35, v19
	v_add_co_u32_e32 v20, vcc, v3, v0
	v_sub_f32_e32 v9, v21, v23
	v_add_f32_e32 v15, v23, v21
	v_addc_co_u32_e32 v21, vcc, v4, v1, vcc
	v_lshlrev_b32_e32 v0, 3, v19
	v_add_co_u32_e32 v2, vcc, v20, v0
	v_add_u32_e32 v0, 56, v35
	v_lshrrev_b32_e32 v4, 4, v0
	v_mul_hi_u32 v4, v4, s0
	v_add_f32_e32 v27, v27, v28
	v_addc_co_u32_e32 v3, vcc, 0, v21, vcc
	v_sub_f32_e32 v18, v27, v30
	global_store_dwordx2 v[2:3], v[5:6], off
	global_store_dwordx2 v[2:3], v[17:18], off offset:896
	global_store_dwordx2 v[2:3], v[15:16], off offset:1792
	v_mul_lo_u32 v5, v4, s2
	s_movk_i32 s0, 0x1000
	v_mov_b32_e32 v1, 0
	global_store_dwordx2 v[2:3], v[13:14], off offset:2688
	global_store_dwordx2 v[2:3], v[11:12], off offset:3584
	v_add_co_u32_e32 v2, vcc, s0, v2
	v_sub_u32_e32 v0, v0, v5
	s_movk_i32 s0, 0x310
	v_mad_u64_u32 v[4:5], s[0:1], v4, s0, v[0:1]
	v_addc_co_u32_e32 v3, vcc, 0, v3, vcc
	v_mov_b32_e32 v5, v1
	v_add_f32_e32 v8, v30, v27
	global_store_dwordx2 v[2:3], v[9:10], off offset:384
	global_store_dwordx2 v[2:3], v[7:8], off offset:1280
	v_lshlrev_b64 v[2:3], 3, v[4:5]
	v_add_u32_e32 v0, 0x70, v4
	v_add_co_u32_e32 v2, vcc, v20, v2
	v_addc_co_u32_e32 v3, vcc, v21, v3, vcc
	global_store_dwordx2 v[2:3], v[33:34], off
	v_lshlrev_b64 v[2:3], 3, v[0:1]
	v_add_u32_e32 v0, 0xe0, v4
	v_add_co_u32_e32 v2, vcc, v20, v2
	v_addc_co_u32_e32 v3, vcc, v21, v3, vcc
	global_store_dwordx2 v[2:3], v[57:58], off
	;; [unrolled: 5-line block ×5, first 2 shown]
	v_lshlrev_b64 v[2:3], 3, v[0:1]
	v_add_u32_e32 v0, 0x2a0, v4
	v_add_co_u32_e32 v2, vcc, v20, v2
	v_lshlrev_b64 v[0:1], 3, v[0:1]
	v_addc_co_u32_e32 v3, vcc, v21, v3, vcc
	v_add_co_u32_e32 v0, vcc, v20, v0
	v_addc_co_u32_e32 v1, vcc, v21, v1, vcc
	global_store_dwordx2 v[2:3], v[38:39], off
	global_store_dwordx2 v[0:1], v[36:37], off
.LBB0_15:
	s_endpgm
	.section	.rodata,"a",@progbits
	.p2align	6, 0x0
	.amdhsa_kernel fft_rtc_back_len784_factors_2_2_2_2_7_7_wgs_56_tpt_56_halfLds_sp_op_CI_CI_unitstride_sbrr_dirReg
		.amdhsa_group_segment_fixed_size 0
		.amdhsa_private_segment_fixed_size 0
		.amdhsa_kernarg_size 104
		.amdhsa_user_sgpr_count 6
		.amdhsa_user_sgpr_private_segment_buffer 1
		.amdhsa_user_sgpr_dispatch_ptr 0
		.amdhsa_user_sgpr_queue_ptr 0
		.amdhsa_user_sgpr_kernarg_segment_ptr 1
		.amdhsa_user_sgpr_dispatch_id 0
		.amdhsa_user_sgpr_flat_scratch_init 0
		.amdhsa_user_sgpr_private_segment_size 0
		.amdhsa_uses_dynamic_stack 0
		.amdhsa_system_sgpr_private_segment_wavefront_offset 0
		.amdhsa_system_sgpr_workgroup_id_x 1
		.amdhsa_system_sgpr_workgroup_id_y 0
		.amdhsa_system_sgpr_workgroup_id_z 0
		.amdhsa_system_sgpr_workgroup_info 0
		.amdhsa_system_vgpr_workitem_id 0
		.amdhsa_next_free_vgpr 59
		.amdhsa_next_free_sgpr 28
		.amdhsa_reserve_vcc 1
		.amdhsa_reserve_flat_scratch 0
		.amdhsa_float_round_mode_32 0
		.amdhsa_float_round_mode_16_64 0
		.amdhsa_float_denorm_mode_32 3
		.amdhsa_float_denorm_mode_16_64 3
		.amdhsa_dx10_clamp 1
		.amdhsa_ieee_mode 1
		.amdhsa_fp16_overflow 0
		.amdhsa_exception_fp_ieee_invalid_op 0
		.amdhsa_exception_fp_denorm_src 0
		.amdhsa_exception_fp_ieee_div_zero 0
		.amdhsa_exception_fp_ieee_overflow 0
		.amdhsa_exception_fp_ieee_underflow 0
		.amdhsa_exception_fp_ieee_inexact 0
		.amdhsa_exception_int_div_zero 0
	.end_amdhsa_kernel
	.text
.Lfunc_end0:
	.size	fft_rtc_back_len784_factors_2_2_2_2_7_7_wgs_56_tpt_56_halfLds_sp_op_CI_CI_unitstride_sbrr_dirReg, .Lfunc_end0-fft_rtc_back_len784_factors_2_2_2_2_7_7_wgs_56_tpt_56_halfLds_sp_op_CI_CI_unitstride_sbrr_dirReg
                                        ; -- End function
	.section	.AMDGPU.csdata,"",@progbits
; Kernel info:
; codeLenInByte = 7604
; NumSgprs: 32
; NumVgprs: 59
; ScratchSize: 0
; MemoryBound: 0
; FloatMode: 240
; IeeeMode: 1
; LDSByteSize: 0 bytes/workgroup (compile time only)
; SGPRBlocks: 3
; VGPRBlocks: 14
; NumSGPRsForWavesPerEU: 32
; NumVGPRsForWavesPerEU: 59
; Occupancy: 4
; WaveLimiterHint : 1
; COMPUTE_PGM_RSRC2:SCRATCH_EN: 0
; COMPUTE_PGM_RSRC2:USER_SGPR: 6
; COMPUTE_PGM_RSRC2:TRAP_HANDLER: 0
; COMPUTE_PGM_RSRC2:TGID_X_EN: 1
; COMPUTE_PGM_RSRC2:TGID_Y_EN: 0
; COMPUTE_PGM_RSRC2:TGID_Z_EN: 0
; COMPUTE_PGM_RSRC2:TIDIG_COMP_CNT: 0
	.type	__hip_cuid_5c77fa5dc3cf7739,@object ; @__hip_cuid_5c77fa5dc3cf7739
	.section	.bss,"aw",@nobits
	.globl	__hip_cuid_5c77fa5dc3cf7739
__hip_cuid_5c77fa5dc3cf7739:
	.byte	0                               ; 0x0
	.size	__hip_cuid_5c77fa5dc3cf7739, 1

	.ident	"AMD clang version 19.0.0git (https://github.com/RadeonOpenCompute/llvm-project roc-6.4.0 25133 c7fe45cf4b819c5991fe208aaa96edf142730f1d)"
	.section	".note.GNU-stack","",@progbits
	.addrsig
	.addrsig_sym __hip_cuid_5c77fa5dc3cf7739
	.amdgpu_metadata
---
amdhsa.kernels:
  - .args:
      - .actual_access:  read_only
        .address_space:  global
        .offset:         0
        .size:           8
        .value_kind:     global_buffer
      - .offset:         8
        .size:           8
        .value_kind:     by_value
      - .actual_access:  read_only
        .address_space:  global
        .offset:         16
        .size:           8
        .value_kind:     global_buffer
      - .actual_access:  read_only
        .address_space:  global
        .offset:         24
        .size:           8
        .value_kind:     global_buffer
      - .actual_access:  read_only
        .address_space:  global
        .offset:         32
        .size:           8
        .value_kind:     global_buffer
      - .offset:         40
        .size:           8
        .value_kind:     by_value
      - .actual_access:  read_only
        .address_space:  global
        .offset:         48
        .size:           8
        .value_kind:     global_buffer
      - .actual_access:  read_only
        .address_space:  global
        .offset:         56
        .size:           8
        .value_kind:     global_buffer
      - .offset:         64
        .size:           4
        .value_kind:     by_value
      - .actual_access:  read_only
        .address_space:  global
        .offset:         72
        .size:           8
        .value_kind:     global_buffer
      - .actual_access:  read_only
        .address_space:  global
        .offset:         80
        .size:           8
        .value_kind:     global_buffer
      - .actual_access:  read_only
        .address_space:  global
        .offset:         88
        .size:           8
        .value_kind:     global_buffer
      - .actual_access:  write_only
        .address_space:  global
        .offset:         96
        .size:           8
        .value_kind:     global_buffer
    .group_segment_fixed_size: 0
    .kernarg_segment_align: 8
    .kernarg_segment_size: 104
    .language:       OpenCL C
    .language_version:
      - 2
      - 0
    .max_flat_workgroup_size: 56
    .name:           fft_rtc_back_len784_factors_2_2_2_2_7_7_wgs_56_tpt_56_halfLds_sp_op_CI_CI_unitstride_sbrr_dirReg
    .private_segment_fixed_size: 0
    .sgpr_count:     32
    .sgpr_spill_count: 0
    .symbol:         fft_rtc_back_len784_factors_2_2_2_2_7_7_wgs_56_tpt_56_halfLds_sp_op_CI_CI_unitstride_sbrr_dirReg.kd
    .uniform_work_group_size: 1
    .uses_dynamic_stack: false
    .vgpr_count:     59
    .vgpr_spill_count: 0
    .wavefront_size: 64
amdhsa.target:   amdgcn-amd-amdhsa--gfx906
amdhsa.version:
  - 1
  - 2
...

	.end_amdgpu_metadata
